;; amdgpu-corpus repo=ROCm/rocFFT kind=compiled arch=gfx1201 opt=O3
	.text
	.amdgcn_target "amdgcn-amd-amdhsa--gfx1201"
	.amdhsa_code_object_version 6
	.protected	bluestein_single_back_len384_dim1_dp_op_CI_CI ; -- Begin function bluestein_single_back_len384_dim1_dp_op_CI_CI
	.globl	bluestein_single_back_len384_dim1_dp_op_CI_CI
	.p2align	8
	.type	bluestein_single_back_len384_dim1_dp_op_CI_CI,@function
bluestein_single_back_len384_dim1_dp_op_CI_CI: ; @bluestein_single_back_len384_dim1_dp_op_CI_CI
; %bb.0:
	s_load_b128 s[16:19], s[0:1], 0x28
	v_lshrrev_b32_e32 v48, 5, v0
	v_mov_b32_e32 v157, 0
	s_mov_b32 s2, exec_lo
	s_delay_alu instid0(VALU_DEP_2) | instskip(SKIP_1) | instid1(VALU_DEP_1)
	v_lshl_or_b32 v156, ttmp9, 2, v48
	s_wait_kmcnt 0x0
	v_cmpx_gt_u64_e64 s[16:17], v[156:157]
	s_cbranch_execz .LBB0_2
; %bb.1:
	s_clause 0x1
	s_load_b128 s[4:7], s[0:1], 0x18
	s_load_b128 s[8:11], s[0:1], 0x0
	v_and_b32_e32 v157, 31, v0
	s_wait_kmcnt 0x0
	s_load_b128 s[12:15], s[4:5], 0x0
	s_wait_kmcnt 0x0
	s_delay_alu instid0(VALU_DEP_1) | instskip(SKIP_4) | instid1(VALU_DEP_2)
	v_mad_co_u64_u32 v[4:5], null, s12, v157, 0
	v_mad_co_u64_u32 v[0:1], null, s14, v156, 0
	s_mul_i32 s4, s13, 0xffffee00
	s_lshl_b64 s[2:3], s[12:13], 10
	s_sub_co_i32 s4, s4, s12
	v_mov_b32_e32 v2, v5
	v_lshlrev_b32_e32 v160, 4, v157
	s_delay_alu instid0(VALU_DEP_2)
	v_mad_co_u64_u32 v[5:6], null, s15, v156, v[1:2]
	v_mad_co_u64_u32 v[2:3], null, s13, v157, v[2:3]
	s_mov_b32 s13, 0xbfebb67a
	s_clause 0x2
	global_load_b128 v[16:19], v160, s[8:9] offset:1024
	global_load_b128 v[20:23], v160, s[8:9] offset:1536
	;; [unrolled: 1-line block ×3, first 2 shown]
	v_mov_b32_e32 v1, v5
	v_mov_b32_e32 v5, v2
	s_delay_alu instid0(VALU_DEP_2)
	v_lshlrev_b64_e32 v[6:7], 4, v[0:1]
	global_load_b128 v[0:3], v160, s[8:9] offset:4096
	v_lshlrev_b64_e32 v[8:9], 4, v[4:5]
	v_add_co_u32 v10, vcc_lo, s18, v6
	v_add_co_ci_u32_e32 v11, vcc_lo, s19, v7, vcc_lo
	global_load_b128 v[4:7], v160, s[8:9] offset:5120
	v_add_co_u32 v40, vcc_lo, v10, v8
	s_wait_alu 0xfffd
	v_add_co_ci_u32_e32 v41, vcc_lo, v11, v9, vcc_lo
	global_load_b128 v[8:11], v160, s[8:9]
	v_add_co_u32 v42, vcc_lo, v40, s2
	s_wait_alu 0xfffd
	v_add_co_ci_u32_e32 v43, vcc_lo, s3, v41, vcc_lo
	s_clause 0x2
	global_load_b128 v[24:27], v160, s[8:9] offset:2048
	global_load_b128 v[28:31], v160, s[8:9] offset:2560
	;; [unrolled: 1-line block ×3, first 2 shown]
	v_add_co_u32 v44, vcc_lo, v42, s2
	s_wait_alu 0xfffd
	v_add_co_ci_u32_e32 v45, vcc_lo, s3, v43, vcc_lo
	global_load_b128 v[36:39], v160, s[8:9] offset:3584
	v_add_co_u32 v46, vcc_lo, v44, s2
	s_wait_alu 0xfffd
	v_add_co_ci_u32_e32 v47, vcc_lo, s3, v45, vcc_lo
	s_clause 0x3
	global_load_b128 v[49:52], v[40:41], off
	global_load_b128 v[53:56], v[42:43], off
	;; [unrolled: 1-line block ×4, first 2 shown]
	v_add_co_u32 v65, vcc_lo, v46, s2
	s_wait_alu 0xfffd
	v_add_co_ci_u32_e32 v66, vcc_lo, s3, v47, vcc_lo
	s_delay_alu instid0(VALU_DEP_2) | instskip(SKIP_1) | instid1(VALU_DEP_2)
	v_add_co_u32 v69, vcc_lo, v65, s2
	s_wait_alu 0xfffd
	v_add_co_ci_u32_e32 v70, vcc_lo, s3, v66, vcc_lo
	global_load_b128 v[65:68], v[65:66], off
	v_mad_co_u64_u32 v[73:74], null, 0xffffee00, s12, v[69:70]
	global_load_b128 v[69:72], v[69:70], off
	v_add_nc_u32_e32 v74, s4, v74
	v_add_co_u32 v40, vcc_lo, v73, s2
	s_wait_alu 0xfffd
	s_delay_alu instid0(VALU_DEP_2) | instskip(NEXT) | instid1(VALU_DEP_2)
	v_add_co_ci_u32_e32 v41, vcc_lo, s3, v74, vcc_lo
	v_add_co_u32 v42, vcc_lo, v40, s2
	global_load_b128 v[73:76], v[73:74], off
	s_wait_alu 0xfffd
	v_add_co_ci_u32_e32 v43, vcc_lo, s3, v41, vcc_lo
	v_add_co_u32 v44, vcc_lo, v42, s2
	global_load_b128 v[77:80], v[40:41], off
	s_wait_alu 0xfffd
	v_add_co_ci_u32_e32 v45, vcc_lo, s3, v43, vcc_lo
	v_add_co_u32 v46, vcc_lo, v44, s2
	global_load_b128 v[81:84], v[42:43], off
	s_wait_alu 0xfffd
	v_add_co_ci_u32_e32 v47, vcc_lo, s3, v45, vcc_lo
	v_add_co_u32 v93, vcc_lo, v46, s2
	s_wait_alu 0xfffd
	s_delay_alu instid0(VALU_DEP_2)
	v_add_co_ci_u32_e32 v94, vcc_lo, s3, v47, vcc_lo
	global_load_b128 v[85:88], v[44:45], off
	global_load_b128 v[40:43], v160, s[8:9] offset:4608
	global_load_b128 v[89:92], v[46:47], off
	global_load_b128 v[44:47], v160, s[8:9] offset:5632
	global_load_b128 v[93:96], v[93:94], off
	s_load_b128 s[4:7], s[6:7], 0x0
	s_mov_b32 s2, 0xe8584caa
	s_mov_b32 s3, 0x3febb67a
	s_wait_alu 0xfffe
	s_mov_b32 s12, s2
	v_cmp_gt_u32_e32 vcc_lo, 24, v157
	s_wait_loadcnt 0xd
	v_mul_f64_e32 v[97:98], v[51:52], v[10:11]
	v_mul_f64_e32 v[99:100], v[49:50], v[10:11]
	s_wait_loadcnt 0xc
	v_mul_f64_e32 v[101:102], v[55:56], v[18:19]
	v_mul_f64_e32 v[103:104], v[53:54], v[18:19]
	;; [unrolled: 3-line block ×8, first 2 shown]
	v_fma_f64 v[49:50], v[49:50], v[8:9], v[97:98]
	v_fma_f64 v[51:52], v[51:52], v[8:9], -v[99:100]
	v_fma_f64 v[53:54], v[53:54], v[16:17], v[101:102]
	s_wait_loadcnt 0x5
	v_mul_f64_e32 v[129:130], v[83:84], v[30:31]
	v_mul_f64_e32 v[131:132], v[81:82], v[30:31]
	v_fma_f64 v[55:56], v[55:56], v[16:17], -v[103:104]
	v_fma_f64 v[57:58], v[57:58], v[24:25], v[105:106]
	s_wait_loadcnt 0x4
	v_mul_f64_e32 v[133:134], v[87:88], v[38:39]
	v_mul_f64_e32 v[135:136], v[85:86], v[38:39]
	s_wait_loadcnt 0x2
	v_mul_f64_e32 v[137:138], v[91:92], v[42:43]
	v_mul_f64_e32 v[139:140], v[89:90], v[42:43]
	;; [unrolled: 3-line block ×3, first 2 shown]
	v_fma_f64 v[59:60], v[59:60], v[24:25], -v[107:108]
	v_fma_f64 v[61:62], v[61:62], v[32:33], v[109:110]
	v_fma_f64 v[63:64], v[63:64], v[32:33], -v[111:112]
	v_fma_f64 v[65:66], v[65:66], v[0:1], v[113:114]
	;; [unrolled: 2-line block ×3, first 2 shown]
	v_fma_f64 v[71:72], v[71:72], v[4:5], -v[119:120]
	v_mul_u32_u24_e32 v120, 0x180, v48
	s_delay_alu instid0(VALU_DEP_1) | instskip(SKIP_1) | instid1(VALU_DEP_2)
	v_or_b32_e32 v48, v120, v157
	v_lshl_or_b32 v158, v120, 4, v160
	v_lshlrev_b32_e32 v159, 4, v48
	v_fma_f64 v[73:74], v[73:74], v[12:13], v[121:122]
	v_fma_f64 v[75:76], v[75:76], v[12:13], -v[123:124]
	v_fma_f64 v[77:78], v[77:78], v[20:21], v[125:126]
	v_fma_f64 v[79:80], v[79:80], v[20:21], -v[127:128]
	;; [unrolled: 2-line block ×6, first 2 shown]
	ds_store_b128 v159, v[49:52]
	ds_store_b128 v159, v[53:56] offset:1024
	ds_store_b128 v158, v[57:60] offset:2048
	;; [unrolled: 1-line block ×11, first 2 shown]
	global_wb scope:SCOPE_SE
	s_wait_dscnt 0x0
	s_wait_kmcnt 0x0
	s_barrier_signal -1
	s_barrier_wait -1
	global_inv scope:SCOPE_SE
	ds_load_b128 v[48:51], v158 offset:5120
	ds_load_b128 v[52:55], v158 offset:3072
	ds_load_b128 v[56:59], v158 offset:3584
	ds_load_b128 v[60:63], v158 offset:5632
	ds_load_b128 v[64:67], v159 offset:1024
	ds_load_b128 v[68:71], v159 offset:1536
	s_wait_dscnt 0x4
	v_add_f64_e32 v[72:73], v[54:55], v[50:51]
	v_add_f64_e32 v[74:75], v[52:53], v[48:49]
	s_wait_dscnt 0x2
	v_add_f64_e32 v[76:77], v[58:59], v[62:63]
	v_add_f64_e32 v[78:79], v[56:57], v[60:61]
	v_add_f64_e64 v[88:89], v[54:55], -v[50:51]
	v_add_f64_e64 v[90:91], v[52:53], -v[48:49]
	;; [unrolled: 1-line block ×4, first 2 shown]
	s_wait_dscnt 0x1
	v_add_f64_e32 v[52:53], v[64:65], v[52:53]
	v_add_f64_e32 v[54:55], v[66:67], v[54:55]
	s_wait_dscnt 0x0
	v_add_f64_e32 v[56:57], v[68:69], v[56:57]
	v_add_f64_e32 v[58:59], v[70:71], v[58:59]
	v_fma_f64 v[92:93], v[72:73], -0.5, v[66:67]
	v_fma_f64 v[94:95], v[74:75], -0.5, v[64:65]
	v_fma_f64 v[100:101], v[76:77], -0.5, v[70:71]
	v_fma_f64 v[102:103], v[78:79], -0.5, v[68:69]
	ds_load_b128 v[72:75], v158 offset:4096
	ds_load_b128 v[76:79], v158 offset:2048
	;; [unrolled: 1-line block ×4, first 2 shown]
	v_add_f64_e32 v[52:53], v[52:53], v[48:49]
	v_add_f64_e32 v[54:55], v[54:55], v[50:51]
	;; [unrolled: 1-line block ×4, first 2 shown]
	v_mul_lo_u16 v48, v157, 43
	s_delay_alu instid0(VALU_DEP_1)
	v_lshrrev_b16 v155, 8, v48
	s_wait_dscnt 0x2
	v_add_f64_e32 v[104:105], v[76:77], v[72:73]
	v_add_f64_e32 v[106:107], v[78:79], v[74:75]
	s_wait_dscnt 0x0
	v_add_f64_e32 v[116:117], v[80:81], v[84:85]
	v_add_f64_e32 v[118:119], v[82:83], v[86:87]
	v_add_f64_e64 v[70:71], v[76:77], -v[72:73]
	s_wait_alu 0xfffe
	v_fma_f64 v[108:109], v[90:91], s[12:13], v[92:93]
	v_fma_f64 v[110:111], v[88:89], s[12:13], v[94:95]
	;; [unrolled: 1-line block ×8, first 2 shown]
	ds_load_b128 v[88:91], v159
	ds_load_b128 v[92:95], v159 offset:512
	v_add_f64_e64 v[102:103], v[78:79], -v[74:75]
	global_wb scope:SCOPE_SE
	s_wait_dscnt 0x0
	s_barrier_signal -1
	s_barrier_wait -1
	global_inv scope:SCOPE_SE
	v_add_f64_e32 v[100:101], v[88:89], v[76:77]
	v_add_f64_e32 v[78:79], v[90:91], v[78:79]
	;; [unrolled: 1-line block ×4, first 2 shown]
	v_fma_f64 v[68:69], v[104:105], -0.5, v[88:89]
	v_fma_f64 v[76:77], v[106:107], -0.5, v[90:91]
	v_add_f64_e64 v[82:83], v[82:83], -v[86:87]
	v_fma_f64 v[92:93], v[116:117], -0.5, v[92:93]
	v_add_f64_e64 v[80:81], v[80:81], -v[84:85]
	v_fma_f64 v[94:95], v[118:119], -0.5, v[94:95]
	v_mul_f64_e32 v[88:89], s[2:3], v[108:109]
	v_mul_f64_e32 v[90:91], -0.5, v[110:111]
	v_mul_f64_e32 v[104:105], s[12:13], v[112:113]
	v_mul_f64_e32 v[106:107], -0.5, v[114:115]
	;; [unrolled: 2-line block ×4, first 2 shown]
	v_add_f64_e32 v[72:73], v[100:101], v[72:73]
	v_add_f64_e32 v[74:75], v[78:79], v[74:75]
	;; [unrolled: 1-line block ×4, first 2 shown]
	v_fma_f64 v[78:79], v[102:103], s[2:3], v[68:69]
	v_fma_f64 v[100:101], v[102:103], s[12:13], v[68:69]
	;; [unrolled: 1-line block ×4, first 2 shown]
	v_or_b32_e32 v84, 32, v157
	v_or_b32_e32 v85, 64, v157
	v_fma_f64 v[76:77], v[112:113], 0.5, v[88:89]
	v_fma_f64 v[87:88], v[114:115], s[2:3], v[90:91]
	v_fma_f64 v[89:90], v[108:109], 0.5, v[104:105]
	v_fma_f64 v[104:105], v[110:111], s[12:13], v[106:107]
	v_fma_f64 v[106:107], v[82:83], s[2:3], v[92:93]
	;; [unrolled: 1-line block ×3, first 2 shown]
	v_fma_f64 v[96:97], v[96:97], 0.5, v[116:117]
	v_fma_f64 v[114:115], v[121:122], 0.5, v[125:126]
	v_fma_f64 v[108:109], v[82:83], s[12:13], v[92:93]
	v_fma_f64 v[112:113], v[80:81], s[2:3], v[94:95]
	;; [unrolled: 1-line block ×4, first 2 shown]
	v_mul_lo_u16 v173, v84, 43
	v_mul_lo_u16 v86, v85, 43
	s_delay_alu instid0(VALU_DEP_1)
	v_lshrrev_b16 v91, 8, v86
	v_lshrrev_b16 v205, 10, v86
	v_add_f64_e32 v[48:49], v[72:73], v[52:53]
	v_add_f64_e32 v[50:51], v[74:75], v[54:55]
	v_add_f64_e64 v[52:53], v[72:73], -v[52:53]
	v_add_f64_e64 v[54:55], v[74:75], -v[54:55]
	v_add_f64_e32 v[56:57], v[64:65], v[60:61]
	v_add_f64_e32 v[58:59], v[66:67], v[62:63]
	v_add_f64_e64 v[60:61], v[64:65], -v[60:61]
	v_add_f64_e64 v[62:63], v[66:67], -v[62:63]
	v_add_f64_e32 v[64:65], v[78:79], v[76:77]
	v_add_f64_e32 v[68:69], v[100:101], v[87:88]
	;; [unrolled: 1-line block ×4, first 2 shown]
	v_add_f64_e64 v[72:73], v[78:79], -v[76:77]
	v_add_f64_e64 v[74:75], v[102:103], -v[89:90]
	;; [unrolled: 1-line block ×4, first 2 shown]
	v_add_f64_e32 v[80:81], v[106:107], v[96:97]
	v_add_f64_e32 v[82:83], v[110:111], v[114:115]
	;; [unrolled: 1-line block ×4, first 2 shown]
	v_add_f64_e64 v[96:97], v[106:107], -v[96:97]
	v_add_f64_e64 v[100:101], v[108:109], -v[98:99]
	;; [unrolled: 1-line block ×4, first 2 shown]
	v_lshrrev_b16 v89, 8, v173
	v_mul_lo_u16 v87, v155, 6
	v_mul_u32_u24_e32 v90, 6, v157
	v_mul_lo_u16 v104, v91, 6
	v_mul_u32_u24_e32 v105, 6, v84
	v_mul_lo_u16 v88, v89, 6
	v_sub_nc_u16 v87, v157, v87
	v_add_lshl_u32 v162, v120, v90, 4
	v_sub_nc_u16 v106, v85, v104
	v_add_lshl_u32 v161, v120, v105, 4
	v_sub_nc_u16 v88, v84, v88
	v_and_b32_e32 v90, 0xff, v87
	v_and_b32_e32 v89, 0xffff, v89
	ds_store_b128 v162, v[48:51]
	ds_store_b128 v162, v[52:55] offset:48
	ds_store_b128 v162, v[64:67] offset:16
	;; [unrolled: 1-line block ×5, first 2 shown]
	ds_store_b128 v161, v[56:59]
	ds_store_b128 v161, v[80:83] offset:16
	ds_store_b128 v161, v[92:95] offset:32
	;; [unrolled: 1-line block ×5, first 2 shown]
	v_and_b32_e32 v88, 0xff, v88
	v_mad_co_u64_u32 v[104:105], null, v90, 48, s[10:11]
	v_and_b32_e32 v90, 0xff, v106
	global_wb scope:SCOPE_SE
	s_wait_dscnt 0x0
	v_mad_co_u64_u32 v[106:107], null, v88, 48, s[10:11]
	s_barrier_signal -1
	s_barrier_wait -1
	global_inv scope:SCOPE_SE
	s_clause 0x1
	global_load_b128 v[68:71], v[104:105], off
	global_load_b128 v[64:67], v[104:105], off offset:16
	v_mad_co_u64_u32 v[72:73], null, v90, 48, s[10:11]
	s_clause 0x6
	global_load_b128 v[60:63], v[104:105], off offset:32
	global_load_b128 v[56:59], v[106:107], off
	global_load_b128 v[52:55], v[106:107], off offset:16
	global_load_b128 v[48:51], v[106:107], off offset:32
	global_load_b128 v[80:83], v[72:73], off
	global_load_b128 v[76:79], v[72:73], off offset:16
	global_load_b128 v[72:75], v[72:73], off offset:32
	ds_load_b128 v[92:95], v159 offset:1536
	ds_load_b128 v[96:99], v159 offset:3072
	ds_load_b128 v[100:103], v159 offset:4608
	ds_load_b128 v[104:107], v159 offset:2048
	ds_load_b128 v[108:111], v159 offset:3584
	ds_load_b128 v[112:115], v159 offset:5120
	ds_load_b128 v[116:119], v159 offset:2560
	ds_load_b128 v[121:124], v159 offset:4096
	ds_load_b128 v[125:128], v159 offset:5632
	v_and_b32_e32 v91, 0xffff, v91
	s_wait_loadcnt_dscnt 0x606
	v_mul_f64_e32 v[137:138], v[102:103], v[62:63]
	v_mul_f64_e32 v[129:130], v[94:95], v[70:71]
	;; [unrolled: 1-line block ×6, first 2 shown]
	s_wait_loadcnt_dscnt 0x505
	v_mul_f64_e32 v[141:142], v[106:107], v[58:59]
	v_mul_f64_e32 v[143:144], v[104:105], v[58:59]
	s_wait_loadcnt_dscnt 0x404
	v_mul_f64_e32 v[145:146], v[110:111], v[54:55]
	v_mul_f64_e32 v[147:148], v[108:109], v[54:55]
	s_wait_loadcnt_dscnt 0x303
	v_mul_f64_e32 v[149:150], v[114:115], v[50:51]
	v_mul_f64_e32 v[151:152], v[112:113], v[50:51]
	s_wait_loadcnt_dscnt 0x202
	v_mul_f64_e32 v[153:154], v[118:119], v[82:83]
	v_mul_f64_e32 v[163:164], v[116:117], v[82:83]
	s_wait_loadcnt_dscnt 0x101
	v_mul_f64_e32 v[165:166], v[123:124], v[78:79]
	v_mul_f64_e32 v[167:168], v[121:122], v[78:79]
	s_wait_loadcnt_dscnt 0x0
	v_mul_f64_e32 v[169:170], v[127:128], v[74:75]
	v_mul_f64_e32 v[171:172], v[125:126], v[74:75]
	v_fma_f64 v[137:138], v[100:101], v[60:61], -v[137:138]
	v_fma_f64 v[129:130], v[92:93], v[68:69], -v[129:130]
	v_fma_f64 v[131:132], v[94:95], v[68:69], v[131:132]
	v_fma_f64 v[133:134], v[96:97], v[64:65], -v[133:134]
	v_fma_f64 v[135:136], v[98:99], v[64:65], v[135:136]
	v_fma_f64 v[139:140], v[102:103], v[60:61], v[139:140]
	v_fma_f64 v[104:105], v[104:105], v[56:57], -v[141:142]
	v_fma_f64 v[106:107], v[106:107], v[56:57], v[143:144]
	v_fma_f64 v[108:109], v[108:109], v[52:53], -v[145:146]
	;; [unrolled: 2-line block ×6, first 2 shown]
	v_fma_f64 v[127:128], v[127:128], v[72:73], v[171:172]
	ds_load_b128 v[92:95], v159
	ds_load_b128 v[96:99], v159 offset:512
	ds_load_b128 v[100:103], v159 offset:1024
	v_mul_lo_u16 v153, v155, 24
	v_lshrrev_b16 v155, 10, v173
	global_wb scope:SCOPE_SE
	s_wait_dscnt 0x0
	s_barrier_signal -1
	s_barrier_wait -1
	global_inv scope:SCOPE_SE
	v_add_f64_e64 v[137:138], v[129:130], -v[137:138]
	v_add_f64_e64 v[133:134], v[92:93], -v[133:134]
	;; [unrolled: 1-line block ×12, first 2 shown]
	v_fma_f64 v[114:115], v[129:130], 2.0, -v[137:138]
	v_fma_f64 v[123:124], v[92:93], 2.0, -v[133:134]
	;; [unrolled: 1-line block ×4, first 2 shown]
	v_add_f64_e64 v[92:93], v[133:134], -v[139:140]
	v_add_f64_e32 v[94:95], v[135:136], v[137:138]
	v_fma_f64 v[129:130], v[96:97], 2.0, -v[141:142]
	v_fma_f64 v[131:132], v[98:99], 2.0, -v[143:144]
	;; [unrolled: 1-line block ×4, first 2 shown]
	v_add_f64_e64 v[96:97], v[141:142], -v[110:111]
	v_fma_f64 v[149:150], v[100:101], 2.0, -v[145:146]
	v_fma_f64 v[151:152], v[102:103], 2.0, -v[147:148]
	;; [unrolled: 1-line block ×4, first 2 shown]
	v_add_f64_e32 v[110:111], v[147:148], v[121:122]
	v_add_f64_e64 v[100:101], v[123:124], -v[114:115]
	v_add_f64_e64 v[102:103], v[127:128], -v[125:126]
	;; [unrolled: 1-line block ×4, first 2 shown]
	v_add_f64_e32 v[98:99], v[143:144], v[108:109]
	v_add_f64_e64 v[108:109], v[145:146], -v[112:113]
	v_fma_f64 v[121:122], v[141:142], 2.0, -v[96:97]
	v_add_f64_e64 v[112:113], v[149:150], -v[116:117]
	v_add_f64_e64 v[114:115], v[151:152], -v[118:119]
	v_subrev_nc_u32_e32 v116, 24, v157
	v_fma_f64 v[118:119], v[135:136], 2.0, -v[94:95]
	v_fma_f64 v[135:136], v[147:148], 2.0, -v[110:111]
	s_wait_alu 0xfffd
	s_delay_alu instid0(VALU_DEP_3) | instskip(SKIP_1) | instid1(VALU_DEP_2)
	v_cndmask_b32_e32 v163, v116, v157, vcc_lo
	v_fma_f64 v[116:117], v[133:134], 2.0, -v[92:93]
	v_mul_i32_i24_e32 v86, 48, v163
	v_mul_hi_i32_i24_e32 v154, 48, v163
	s_delay_alu instid0(VALU_DEP_2)
	v_add_co_u32 v141, vcc_lo, s10, v86
	v_or_b32_e32 v86, v153, v87
	v_mul_u32_u24_e32 v87, 24, v89
	v_mul_u32_u24_e32 v89, 24, v91
	s_wait_alu 0xfffd
	v_add_co_ci_u32_e32 v142, vcc_lo, s11, v154, vcc_lo
	v_and_or_b32 v86, 0xff, v86, v120
	v_fma_f64 v[125:126], v[123:124], 2.0, -v[100:101]
	v_or_b32_e32 v87, v87, v88
	v_fma_f64 v[127:128], v[127:128], 2.0, -v[102:103]
	v_or_b32_e32 v88, v89, v90
	v_lshlrev_b32_e32 v166, 4, v86
	v_cmp_lt_u32_e32 vcc_lo, 23, v157
	v_add_lshl_u32 v165, v120, v87, 4
	v_fma_f64 v[129:130], v[129:130], 2.0, -v[104:105]
	v_fma_f64 v[131:132], v[131:132], 2.0, -v[106:107]
	;; [unrolled: 1-line block ×4, first 2 shown]
	v_mul_lo_u16 v143, v155, 24
	v_mul_lo_u16 v144, v205, 24
	v_fma_f64 v[137:138], v[149:150], 2.0, -v[112:113]
	v_fma_f64 v[139:140], v[151:152], 2.0, -v[114:115]
	v_add_lshl_u32 v164, v120, v88, 4
	v_sub_nc_u16 v84, v84, v143
	v_sub_nc_u16 v85, v85, v144
	ds_store_b128 v166, v[92:95] offset:288
	ds_store_b128 v166, v[100:103] offset:192
	;; [unrolled: 1-line block ×3, first 2 shown]
	ds_store_b128 v166, v[125:128]
	ds_store_b128 v165, v[129:132]
	ds_store_b128 v165, v[121:124] offset:96
	ds_store_b128 v165, v[104:107] offset:192
	;; [unrolled: 1-line block ×3, first 2 shown]
	ds_store_b128 v164, v[137:140]
	ds_store_b128 v164, v[133:136] offset:96
	ds_store_b128 v164, v[112:115] offset:192
	;; [unrolled: 1-line block ×3, first 2 shown]
	v_and_b32_e32 v206, 0xff, v84
	v_and_b32_e32 v207, 0xff, v85
	global_wb scope:SCOPE_SE
	s_wait_dscnt 0x0
	s_barrier_signal -1
	s_barrier_wait -1
	v_mad_co_u64_u32 v[84:85], null, v206, 48, s[10:11]
	global_inv scope:SCOPE_SE
	s_clause 0x1
	global_load_b128 v[104:107], v[141:142], off offset:288
	global_load_b128 v[100:103], v[141:142], off offset:304
	v_mad_co_u64_u32 v[108:109], null, v207, 48, s[10:11]
	s_clause 0x6
	global_load_b128 v[96:99], v[141:142], off offset:320
	global_load_b128 v[92:95], v[84:85], off offset:288
	;; [unrolled: 1-line block ×7, first 2 shown]
	ds_load_b128 v[121:124], v159 offset:1536
	ds_load_b128 v[125:128], v159 offset:3072
	;; [unrolled: 1-line block ×9, first 2 shown]
	s_wait_loadcnt_dscnt 0x606
	v_mul_f64_e32 v[177:178], v[131:132], v[98:99]
	v_mul_f64_e32 v[153:154], v[123:124], v[106:107]
	;; [unrolled: 1-line block ×6, first 2 shown]
	s_wait_loadcnt_dscnt 0x505
	v_mul_f64_e32 v[181:182], v[135:136], v[94:95]
	v_mul_f64_e32 v[183:184], v[133:134], v[94:95]
	s_wait_loadcnt_dscnt 0x404
	v_mul_f64_e32 v[185:186], v[139:140], v[90:91]
	v_mul_f64_e32 v[187:188], v[137:138], v[90:91]
	;; [unrolled: 3-line block ×6, first 2 shown]
	v_fma_f64 v[177:178], v[129:130], v[96:97], -v[177:178]
	v_fma_f64 v[153:154], v[121:122], v[104:105], -v[153:154]
	v_fma_f64 v[171:172], v[123:124], v[104:105], v[171:172]
	v_fma_f64 v[173:174], v[125:126], v[100:101], -v[173:174]
	v_fma_f64 v[175:176], v[127:128], v[100:101], v[175:176]
	v_fma_f64 v[179:180], v[131:132], v[96:97], v[179:180]
	v_fma_f64 v[133:134], v[133:134], v[92:93], -v[181:182]
	v_fma_f64 v[135:136], v[135:136], v[92:93], v[183:184]
	v_fma_f64 v[137:138], v[137:138], v[88:89], -v[185:186]
	;; [unrolled: 2-line block ×6, first 2 shown]
	v_fma_f64 v[169:170], v[169:170], v[108:109], v[203:204]
	ds_load_b128 v[121:124], v159
	ds_load_b128 v[125:128], v159 offset:512
	ds_load_b128 v[129:132], v159 offset:1024
	global_wb scope:SCOPE_SE
	s_wait_dscnt 0x0
	s_barrier_signal -1
	s_barrier_wait -1
	global_inv scope:SCOPE_SE
	v_add_f64_e64 v[177:178], v[153:154], -v[177:178]
	v_add_f64_e64 v[173:174], v[121:122], -v[173:174]
	;; [unrolled: 1-line block ×12, first 2 shown]
	v_fma_f64 v[151:152], v[121:122], 2.0, -v[173:174]
	v_fma_f64 v[167:168], v[123:124], 2.0, -v[175:176]
	;; [unrolled: 1-line block ×4, first 2 shown]
	v_add_f64_e64 v[121:122], v[173:174], -v[179:180]
	v_fma_f64 v[153:154], v[125:126], 2.0, -v[181:182]
	v_fma_f64 v[189:190], v[127:128], 2.0, -v[183:184]
	;; [unrolled: 1-line block ×8, first 2 shown]
	v_add_f64_e64 v[129:130], v[181:182], -v[139:140]
	v_add_f64_e32 v[131:132], v[183:184], v[137:138]
	v_add_f64_e64 v[137:138], v[185:186], -v[141:142]
	v_add_f64_e32 v[139:140], v[187:188], v[149:150]
	v_add_f64_e64 v[125:126], v[151:152], -v[123:124]
	v_add_f64_e64 v[127:128], v[167:168], -v[143:144]
	v_add_f64_e32 v[123:124], v[175:176], v[177:178]
	v_add_f64_e64 v[133:134], v[153:154], -v[133:134]
	v_add_f64_e64 v[135:136], v[189:190], -v[135:136]
	;; [unrolled: 1-line block ×4, first 2 shown]
	v_fma_f64 v[145:146], v[173:174], 2.0, -v[121:122]
	v_fma_f64 v[170:171], v[181:182], 2.0, -v[129:130]
	;; [unrolled: 1-line block ×5, first 2 shown]
	v_mad_co_u64_u32 v[186:187], null, v157, 48, s[10:11]
	s_add_nc_u64 s[10:11], s[8:9], 0x1800
	v_fma_f64 v[149:150], v[151:152], 2.0, -v[125:126]
	v_fma_f64 v[151:152], v[167:168], 2.0, -v[127:128]
	;; [unrolled: 1-line block ×5, first 2 shown]
	s_wait_alu 0xfffd
	v_cndmask_b32_e64 v153, 0, 0x60, vcc_lo
	v_and_b32_e32 v154, 0xffff, v155
	v_and_b32_e32 v155, 0xffff, v205
	v_fma_f64 v[182:183], v[191:192], 2.0, -v[141:142]
	v_fma_f64 v[184:185], v[193:194], 2.0, -v[143:144]
	v_or_b32_e32 v153, v163, v153
	v_mul_u32_u24_e32 v154, 0x60, v154
	v_mul_u32_u24_e32 v155, 0x60, v155
	s_delay_alu instid0(VALU_DEP_3) | instskip(SKIP_1) | instid1(VALU_DEP_4)
	v_or_b32_e32 v167, v120, v153
	v_add_lshl_u32 v163, v120, v153, 4
	v_or_b32_e32 v153, v154, v206
	s_delay_alu instid0(VALU_DEP_4) | instskip(NEXT) | instid1(VALU_DEP_4)
	v_or_b32_e32 v154, v155, v207
	v_lshlrev_b32_e32 v169, 4, v167
	s_delay_alu instid0(VALU_DEP_3) | instskip(NEXT) | instid1(VALU_DEP_3)
	v_add_lshl_u32 v168, v120, v153, 4
	v_add_lshl_u32 v167, v120, v154, 4
	ds_store_b128 v169, v[149:152]
	ds_store_b128 v163, v[145:148] offset:384
	ds_store_b128 v163, v[125:128] offset:768
	ds_store_b128 v163, v[121:124] offset:1152
	ds_store_b128 v168, v[174:177]
	ds_store_b128 v168, v[170:173] offset:384
	ds_store_b128 v168, v[133:136] offset:768
	ds_store_b128 v168, v[129:132] offset:1152
	;; [unrolled: 4-line block ×3, first 2 shown]
	global_wb scope:SCOPE_SE
	s_wait_dscnt 0x0
	s_barrier_signal -1
	s_barrier_wait -1
	global_inv scope:SCOPE_SE
	s_clause 0x8
	global_load_b128 v[128:131], v[186:187], off offset:1440
	global_load_b128 v[124:127], v[186:187], off offset:1456
	;; [unrolled: 1-line block ×9, first 2 shown]
	ds_load_b128 v[170:173], v159 offset:1536
	ds_load_b128 v[174:177], v159 offset:3072
	;; [unrolled: 1-line block ×9, first 2 shown]
	s_wait_loadcnt_dscnt 0x808
	v_mul_f64_e32 v[206:207], v[172:173], v[130:131]
	v_mul_f64_e32 v[208:209], v[170:171], v[130:131]
	s_wait_loadcnt_dscnt 0x707
	v_mul_f64_e32 v[210:211], v[176:177], v[126:127]
	v_mul_f64_e32 v[212:213], v[174:175], v[126:127]
	;; [unrolled: 3-line block ×9, first 2 shown]
	v_fma_f64 v[206:207], v[170:171], v[128:129], -v[206:207]
	v_fma_f64 v[208:209], v[172:173], v[128:129], v[208:209]
	v_fma_f64 v[210:211], v[174:175], v[124:125], -v[210:211]
	v_fma_f64 v[212:213], v[176:177], v[124:125], v[212:213]
	;; [unrolled: 2-line block ×9, first 2 shown]
	ds_load_b128 v[170:173], v159
	ds_load_b128 v[174:177], v159 offset:512
	ds_load_b128 v[178:181], v159 offset:1024
	s_wait_dscnt 0x2
	v_add_f64_e64 v[210:211], v[170:171], -v[210:211]
	v_add_f64_e64 v[212:213], v[172:173], -v[212:213]
	v_add_f64_e64 v[214:215], v[206:207], -v[214:215]
	v_add_f64_e64 v[216:217], v[208:209], -v[216:217]
	s_wait_dscnt 0x1
	v_add_f64_e64 v[218:219], v[174:175], -v[186:187]
	v_add_f64_e64 v[220:221], v[176:177], -v[188:189]
	v_add_f64_e64 v[186:187], v[182:183], -v[190:191]
	v_add_f64_e64 v[188:189], v[184:185], -v[192:193]
	;; [unrolled: 5-line block ×3, first 2 shown]
	v_fma_f64 v[200:201], v[170:171], 2.0, -v[210:211]
	v_fma_f64 v[202:203], v[172:173], 2.0, -v[212:213]
	;; [unrolled: 1-line block ×4, first 2 shown]
	v_add_f64_e64 v[170:171], v[210:211], -v[216:217]
	v_add_f64_e32 v[172:173], v[212:213], v[214:215]
	v_fma_f64 v[206:207], v[174:175], 2.0, -v[218:219]
	v_fma_f64 v[208:209], v[176:177], 2.0, -v[220:221]
	;; [unrolled: 1-line block ×8, first 2 shown]
	v_add_f64_e64 v[178:179], v[218:219], -v[188:189]
	v_add_f64_e32 v[180:181], v[220:221], v[186:187]
	v_add_f64_e64 v[186:187], v[222:223], -v[190:191]
	v_add_f64_e32 v[188:189], v[224:225], v[198:199]
	v_add_f64_e64 v[174:175], v[200:201], -v[192:193]
	v_add_f64_e64 v[176:177], v[202:203], -v[204:205]
	;; [unrolled: 1-line block ×6, first 2 shown]
	v_fma_f64 v[194:195], v[210:211], 2.0, -v[170:171]
	v_fma_f64 v[196:197], v[212:213], 2.0, -v[172:173]
	v_fma_f64 v[204:205], v[220:221], 2.0, -v[180:181]
	v_fma_f64 v[210:211], v[222:223], 2.0, -v[186:187]
	v_fma_f64 v[212:213], v[224:225], 2.0, -v[188:189]
	v_fma_f64 v[198:199], v[200:201], 2.0, -v[174:175]
	v_fma_f64 v[200:201], v[202:203], 2.0, -v[176:177]
	v_fma_f64 v[202:203], v[218:219], 2.0, -v[178:179]
	v_fma_f64 v[206:207], v[206:207], 2.0, -v[182:183]
	v_fma_f64 v[208:209], v[208:209], 2.0, -v[184:185]
	v_fma_f64 v[214:215], v[226:227], 2.0, -v[190:191]
	v_fma_f64 v[216:217], v[228:229], 2.0, -v[192:193]
	ds_store_b128 v159, v[194:197] offset:1536
	ds_store_b128 v159, v[198:201]
	ds_store_b128 v158, v[174:177] offset:3072
	ds_store_b128 v158, v[170:173] offset:4608
	;; [unrolled: 1-line block ×10, first 2 shown]
	global_wb scope:SCOPE_SE
	s_wait_dscnt 0x0
	s_barrier_signal -1
	s_barrier_wait -1
	global_inv scope:SCOPE_SE
	s_clause 0x5
	global_load_b128 v[170:173], v160, s[8:9] offset:6144
	global_load_b128 v[174:177], v160, s[10:11] offset:1024
	;; [unrolled: 1-line block ×6, first 2 shown]
	ds_load_b128 v[194:197], v159
	ds_load_b128 v[198:201], v159 offset:1024
	s_wait_loadcnt_dscnt 0x501
	v_mul_f64_e32 v[202:203], v[196:197], v[172:173]
	v_mul_f64_e32 v[172:173], v[194:195], v[172:173]
	s_wait_loadcnt_dscnt 0x400
	v_mul_f64_e32 v[204:205], v[200:201], v[176:177]
	v_mul_f64_e32 v[176:177], v[198:199], v[176:177]
	s_delay_alu instid0(VALU_DEP_4) | instskip(NEXT) | instid1(VALU_DEP_4)
	v_fma_f64 v[194:195], v[194:195], v[170:171], -v[202:203]
	v_fma_f64 v[196:197], v[196:197], v[170:171], v[172:173]
	s_delay_alu instid0(VALU_DEP_4) | instskip(NEXT) | instid1(VALU_DEP_4)
	v_fma_f64 v[170:171], v[198:199], v[174:175], -v[204:205]
	v_fma_f64 v[172:173], v[200:201], v[174:175], v[176:177]
	s_clause 0x1
	global_load_b128 v[174:177], v160, s[10:11] offset:512
	global_load_b128 v[198:201], v160, s[10:11] offset:1536
	ds_store_b128 v159, v[194:197]
	ds_store_b128 v159, v[170:173] offset:1024
	ds_load_b128 v[170:173], v158 offset:2048
	s_wait_loadcnt_dscnt 0x500
	v_mul_f64_e32 v[194:195], v[172:173], v[180:181]
	v_mul_f64_e32 v[180:181], v[170:171], v[180:181]
	s_delay_alu instid0(VALU_DEP_2) | instskip(NEXT) | instid1(VALU_DEP_2)
	v_fma_f64 v[170:171], v[170:171], v[178:179], -v[194:195]
	v_fma_f64 v[172:173], v[172:173], v[178:179], v[180:181]
	global_load_b128 v[178:181], v160, s[10:11] offset:2560
	ds_store_b128 v158, v[170:173] offset:2048
	ds_load_b128 v[170:173], v159 offset:3072
	s_wait_loadcnt_dscnt 0x500
	v_mul_f64_e32 v[194:195], v[172:173], v[184:185]
	v_mul_f64_e32 v[184:185], v[170:171], v[184:185]
	s_delay_alu instid0(VALU_DEP_2) | instskip(NEXT) | instid1(VALU_DEP_2)
	v_fma_f64 v[170:171], v[170:171], v[182:183], -v[194:195]
	v_fma_f64 v[172:173], v[172:173], v[182:183], v[184:185]
	global_load_b128 v[182:185], v160, s[10:11] offset:3584
	ds_store_b128 v159, v[170:173] offset:3072
	ds_load_b128 v[170:173], v158 offset:4096
	ds_load_b128 v[194:197], v158 offset:5120
	s_wait_loadcnt_dscnt 0x501
	v_mul_f64_e32 v[202:203], v[172:173], v[188:189]
	v_mul_f64_e32 v[188:189], v[170:171], v[188:189]
	s_wait_loadcnt_dscnt 0x400
	v_mul_f64_e32 v[204:205], v[196:197], v[192:193]
	v_mul_f64_e32 v[192:193], v[194:195], v[192:193]
	s_delay_alu instid0(VALU_DEP_4) | instskip(NEXT) | instid1(VALU_DEP_4)
	v_fma_f64 v[170:171], v[170:171], v[186:187], -v[202:203]
	v_fma_f64 v[172:173], v[172:173], v[186:187], v[188:189]
	s_delay_alu instid0(VALU_DEP_4) | instskip(NEXT) | instid1(VALU_DEP_4)
	v_fma_f64 v[186:187], v[194:195], v[190:191], -v[204:205]
	v_fma_f64 v[188:189], v[196:197], v[190:191], v[192:193]
	s_clause 0x1
	global_load_b128 v[190:193], v160, s[10:11] offset:4608
	global_load_b128 v[194:197], v160, s[10:11] offset:5632
	ds_store_b128 v158, v[170:173] offset:4096
	ds_store_b128 v158, v[186:189] offset:5120
	ds_load_b128 v[170:173], v159 offset:512
	ds_load_b128 v[186:189], v159 offset:1536
	s_wait_loadcnt_dscnt 0x501
	v_mul_f64_e32 v[202:203], v[172:173], v[176:177]
	v_mul_f64_e32 v[176:177], v[170:171], v[176:177]
	s_wait_loadcnt_dscnt 0x400
	v_mul_f64_e32 v[204:205], v[188:189], v[200:201]
	v_mul_f64_e32 v[200:201], v[186:187], v[200:201]
	s_delay_alu instid0(VALU_DEP_4) | instskip(NEXT) | instid1(VALU_DEP_4)
	v_fma_f64 v[170:171], v[170:171], v[174:175], -v[202:203]
	v_fma_f64 v[172:173], v[172:173], v[174:175], v[176:177]
	s_delay_alu instid0(VALU_DEP_4) | instskip(NEXT) | instid1(VALU_DEP_4)
	v_fma_f64 v[174:175], v[186:187], v[198:199], -v[204:205]
	v_fma_f64 v[176:177], v[188:189], v[198:199], v[200:201]
	ds_store_b128 v159, v[170:173] offset:512
	ds_store_b128 v159, v[174:177] offset:1536
	ds_load_b128 v[170:173], v158 offset:2560
	s_wait_loadcnt_dscnt 0x300
	v_mul_f64_e32 v[174:175], v[172:173], v[180:181]
	v_mul_f64_e32 v[176:177], v[170:171], v[180:181]
	s_delay_alu instid0(VALU_DEP_2) | instskip(NEXT) | instid1(VALU_DEP_2)
	v_fma_f64 v[170:171], v[170:171], v[178:179], -v[174:175]
	v_fma_f64 v[172:173], v[172:173], v[178:179], v[176:177]
	ds_store_b128 v158, v[170:173] offset:2560
	ds_load_b128 v[170:173], v159 offset:3584
	s_wait_loadcnt_dscnt 0x200
	v_mul_f64_e32 v[174:175], v[172:173], v[184:185]
	v_mul_f64_e32 v[176:177], v[170:171], v[184:185]
	s_delay_alu instid0(VALU_DEP_2) | instskip(NEXT) | instid1(VALU_DEP_2)
	v_fma_f64 v[170:171], v[170:171], v[182:183], -v[174:175]
	v_fma_f64 v[172:173], v[172:173], v[182:183], v[176:177]
	ds_store_b128 v159, v[170:173] offset:3584
	ds_load_b128 v[170:173], v158 offset:4608
	ds_load_b128 v[174:177], v158 offset:5632
	s_wait_loadcnt_dscnt 0x101
	v_mul_f64_e32 v[178:179], v[172:173], v[192:193]
	v_mul_f64_e32 v[180:181], v[170:171], v[192:193]
	s_wait_loadcnt_dscnt 0x0
	v_mul_f64_e32 v[182:183], v[176:177], v[196:197]
	v_mul_f64_e32 v[184:185], v[174:175], v[196:197]
	s_delay_alu instid0(VALU_DEP_4) | instskip(NEXT) | instid1(VALU_DEP_4)
	v_fma_f64 v[170:171], v[170:171], v[190:191], -v[178:179]
	v_fma_f64 v[172:173], v[172:173], v[190:191], v[180:181]
	s_delay_alu instid0(VALU_DEP_4) | instskip(NEXT) | instid1(VALU_DEP_4)
	v_fma_f64 v[174:175], v[174:175], v[194:195], -v[182:183]
	v_fma_f64 v[176:177], v[176:177], v[194:195], v[184:185]
	ds_store_b128 v158, v[170:173] offset:4608
	ds_store_b128 v158, v[174:177] offset:5632
	global_wb scope:SCOPE_SE
	s_wait_dscnt 0x0
	s_barrier_signal -1
	s_barrier_wait -1
	global_inv scope:SCOPE_SE
	ds_load_b128 v[170:173], v158 offset:5120
	ds_load_b128 v[174:177], v159 offset:3072
	ds_load_b128 v[178:181], v159 offset:3584
	ds_load_b128 v[182:185], v158 offset:5632
	ds_load_b128 v[186:189], v159 offset:1024
	ds_load_b128 v[190:193], v159 offset:1536
	s_wait_dscnt 0x4
	v_add_f64_e32 v[194:195], v[176:177], v[172:173]
	v_add_f64_e32 v[210:211], v[174:175], v[170:171]
	s_wait_dscnt 0x2
	v_add_f64_e32 v[196:197], v[180:181], v[184:185]
	v_add_f64_e64 v[212:213], v[174:175], -v[170:171]
	v_add_f64_e32 v[216:217], v[178:179], v[182:183]
	v_add_f64_e64 v[218:219], v[178:179], -v[182:183]
	v_add_f64_e64 v[226:227], v[176:177], -v[172:173]
	;; [unrolled: 1-line block ×3, first 2 shown]
	s_wait_dscnt 0x1
	v_add_f64_e32 v[174:175], v[186:187], v[174:175]
	v_add_f64_e32 v[176:177], v[188:189], v[176:177]
	s_wait_dscnt 0x0
	v_add_f64_e32 v[178:179], v[190:191], v[178:179]
	v_add_f64_e32 v[180:181], v[192:193], v[180:181]
	v_fma_f64 v[214:215], v[194:195], -0.5, v[188:189]
	v_fma_f64 v[228:229], v[210:211], -0.5, v[186:187]
	v_fma_f64 v[220:221], v[196:197], -0.5, v[192:193]
	ds_load_b128 v[194:197], v158 offset:4096
	ds_load_b128 v[198:201], v158 offset:2048
	;; [unrolled: 1-line block ×4, first 2 shown]
	v_fma_f64 v[240:241], v[216:217], -0.5, v[190:191]
	v_add_f64_e32 v[174:175], v[174:175], v[170:171]
	v_add_f64_e32 v[176:177], v[176:177], v[172:173]
	;; [unrolled: 1-line block ×4, first 2 shown]
	s_wait_dscnt 0x2
	v_add_f64_e32 v[222:223], v[198:199], v[194:195]
	v_add_f64_e32 v[224:225], v[200:201], v[196:197]
	s_wait_dscnt 0x0
	v_add_f64_e32 v[234:235], v[202:203], v[206:207]
	v_add_f64_e32 v[236:237], v[204:205], v[208:209]
	v_add_f64_e64 v[188:189], v[200:201], -v[196:197]
	v_fma_f64 v[230:231], v[212:213], s[2:3], v[214:215]
	v_fma_f64 v[232:233], v[212:213], s[12:13], v[214:215]
	;; [unrolled: 1-line block ×4, first 2 shown]
	ds_load_b128 v[210:213], v159
	ds_load_b128 v[214:217], v159 offset:512
	v_fma_f64 v[220:221], v[226:227], s[12:13], v[228:229]
	global_wb scope:SCOPE_SE
	s_wait_dscnt 0x0
	s_barrier_signal -1
	s_barrier_wait -1
	global_inv scope:SCOPE_SE
	v_add_f64_e32 v[186:187], v[210:211], v[198:199]
	v_add_f64_e32 v[200:201], v[212:213], v[200:201]
	v_add_f64_e64 v[198:199], v[198:199], -v[194:195]
	v_add_f64_e32 v[190:191], v[214:215], v[202:203]
	v_add_f64_e32 v[192:193], v[216:217], v[204:205]
	v_fma_f64 v[210:211], v[222:223], -0.5, v[210:211]
	v_fma_f64 v[212:213], v[224:225], -0.5, v[212:213]
	v_fma_f64 v[222:223], v[226:227], s[2:3], v[228:229]
	v_add_f64_e64 v[204:205], v[204:205], -v[208:209]
	v_add_f64_e64 v[202:203], v[202:203], -v[206:207]
	v_fma_f64 v[214:215], v[234:235], -0.5, v[214:215]
	v_fma_f64 v[216:217], v[236:237], -0.5, v[216:217]
	v_fma_f64 v[234:235], v[238:239], s[2:3], v[240:241]
	v_mul_f64_e32 v[224:225], s[12:13], v[230:231]
	v_mul_f64_e32 v[228:229], 0.5, v[230:231]
	v_mul_f64_e32 v[226:227], s[12:13], v[232:233]
	v_mul_f64_e32 v[230:231], -0.5, v[232:233]
	v_fma_f64 v[232:233], v[238:239], s[12:13], v[240:241]
	v_mul_f64_e32 v[236:237], s[12:13], v[242:243]
	v_mul_f64_e32 v[240:241], 0.5, v[242:243]
	v_mul_f64_e32 v[238:239], s[12:13], v[218:219]
	v_mul_f64_e32 v[218:219], -0.5, v[218:219]
	v_add_f64_e32 v[186:187], v[186:187], v[194:195]
	v_add_f64_e32 v[194:195], v[200:201], v[196:197]
	;; [unrolled: 1-line block ×4, first 2 shown]
	v_fma_f64 v[196:197], v[188:189], s[12:13], v[210:211]
	v_fma_f64 v[206:207], v[198:199], s[2:3], v[212:213]
	;; [unrolled: 1-line block ×4, first 2 shown]
	v_fma_f64 v[198:199], v[220:221], 0.5, v[224:225]
	v_fma_f64 v[212:213], v[220:221], s[2:3], v[228:229]
	v_fma_f64 v[210:211], v[222:223], -0.5, v[226:227]
	v_fma_f64 v[220:221], v[222:223], s[2:3], v[230:231]
	v_fma_f64 v[222:223], v[204:205], s[12:13], v[214:215]
	;; [unrolled: 1-line block ×3, first 2 shown]
	v_fma_f64 v[226:227], v[232:233], 0.5, v[236:237]
	v_fma_f64 v[230:231], v[232:233], s[2:3], v[240:241]
	v_fma_f64 v[214:215], v[204:205], s[2:3], v[214:215]
	;; [unrolled: 1-line block ×3, first 2 shown]
	v_fma_f64 v[228:229], v[234:235], -0.5, v[238:239]
	v_fma_f64 v[218:219], v[234:235], s[2:3], v[218:219]
	s_load_b64 s[2:3], s[0:1], 0x38
	s_lshl_b64 s[0:1], s[4:5], 10
	v_add_f64_e32 v[170:171], v[186:187], v[174:175]
	v_add_f64_e32 v[172:173], v[194:195], v[176:177]
	v_add_f64_e64 v[174:175], v[186:187], -v[174:175]
	v_add_f64_e64 v[176:177], v[194:195], -v[176:177]
	v_add_f64_e32 v[178:179], v[190:191], v[182:183]
	v_add_f64_e32 v[180:181], v[192:193], v[184:185]
	v_add_f64_e64 v[182:183], v[190:191], -v[182:183]
	v_add_f64_e64 v[184:185], v[192:193], -v[184:185]
	v_add_f64_e32 v[186:187], v[196:197], v[198:199]
	v_add_f64_e32 v[188:189], v[206:207], v[212:213]
	;; [unrolled: 1-line block ×4, first 2 shown]
	v_add_f64_e64 v[194:195], v[196:197], -v[198:199]
	v_add_f64_e64 v[196:197], v[206:207], -v[212:213]
	;; [unrolled: 1-line block ×4, first 2 shown]
	v_add_f64_e32 v[202:203], v[222:223], v[226:227]
	v_add_f64_e32 v[204:205], v[224:225], v[230:231]
	;; [unrolled: 1-line block ×4, first 2 shown]
	v_add_f64_e64 v[210:211], v[222:223], -v[226:227]
	v_add_f64_e64 v[212:213], v[224:225], -v[230:231]
	;; [unrolled: 1-line block ×4, first 2 shown]
	ds_store_b128 v162, v[170:173]
	ds_store_b128 v162, v[174:177] offset:48
	ds_store_b128 v162, v[186:189] offset:16
	;; [unrolled: 1-line block ×5, first 2 shown]
	ds_store_b128 v161, v[178:181]
	ds_store_b128 v161, v[202:205] offset:16
	ds_store_b128 v161, v[206:209] offset:32
	;; [unrolled: 1-line block ×5, first 2 shown]
	global_wb scope:SCOPE_SE
	s_wait_dscnt 0x0
	s_wait_kmcnt 0x0
	s_barrier_signal -1
	s_barrier_wait -1
	global_inv scope:SCOPE_SE
	ds_load_b128 v[170:173], v159 offset:1536
	ds_load_b128 v[174:177], v159 offset:3072
	;; [unrolled: 1-line block ×9, first 2 shown]
	s_wait_dscnt 0x8
	v_mul_f64_e32 v[160:161], v[70:71], v[172:173]
	v_mul_f64_e32 v[70:71], v[70:71], v[170:171]
	s_wait_dscnt 0x7
	v_mul_f64_e32 v[206:207], v[66:67], v[176:177]
	v_mul_f64_e32 v[66:67], v[66:67], v[174:175]
	;; [unrolled: 3-line block ×9, first 2 shown]
	v_fma_f64 v[160:161], v[68:69], v[170:171], v[160:161]
	v_fma_f64 v[68:69], v[68:69], v[172:173], -v[70:71]
	v_fma_f64 v[70:71], v[64:65], v[174:175], v[206:207]
	v_fma_f64 v[64:65], v[64:65], v[176:177], -v[66:67]
	;; [unrolled: 2-line block ×9, first 2 shown]
	ds_load_b128 v[48:51], v159
	ds_load_b128 v[52:55], v159 offset:512
	ds_load_b128 v[56:59], v159 offset:1024
	global_wb scope:SCOPE_SE
	s_wait_dscnt 0x0
	s_barrier_signal -1
	s_barrier_wait -1
	global_inv scope:SCOPE_SE
	v_add_f64_e64 v[74:75], v[48:49], -v[70:71]
	v_add_f64_e64 v[182:183], v[50:51], -v[64:65]
	;; [unrolled: 1-line block ×12, first 2 shown]
	v_fma_f64 v[78:79], v[48:49], 2.0, -v[74:75]
	v_fma_f64 v[82:83], v[50:51], 2.0, -v[182:183]
	;; [unrolled: 1-line block ×4, first 2 shown]
	v_add_f64_e32 v[48:49], v[74:75], v[60:61]
	v_add_f64_e64 v[50:51], v[182:183], -v[64:65]
	v_fma_f64 v[178:179], v[52:53], 2.0, -v[172:173]
	v_fma_f64 v[186:187], v[54:55], 2.0, -v[174:175]
	;; [unrolled: 1-line block ×4, first 2 shown]
	v_add_f64_e32 v[52:53], v[172:173], v[70:71]
	v_fma_f64 v[188:189], v[56:57], 2.0, -v[176:177]
	v_fma_f64 v[190:191], v[58:59], 2.0, -v[184:185]
	;; [unrolled: 1-line block ×4, first 2 shown]
	v_add_f64_e32 v[64:65], v[176:177], v[72:73]
	v_add_f64_e64 v[56:57], v[78:79], -v[160:161]
	v_add_f64_e64 v[58:59], v[82:83], -v[68:69]
	v_fma_f64 v[72:73], v[74:75], 2.0, -v[48:49]
	v_fma_f64 v[74:75], v[182:183], 2.0, -v[50:51]
	v_add_f64_e64 v[60:61], v[178:179], -v[54:55]
	v_add_f64_e64 v[62:63], v[186:187], -v[62:63]
	;; [unrolled: 1-line block ×4, first 2 shown]
	v_fma_f64 v[76:77], v[172:173], 2.0, -v[52:53]
	v_add_f64_e64 v[68:69], v[188:189], -v[170:171]
	v_add_f64_e64 v[70:71], v[190:191], -v[80:81]
	v_fma_f64 v[80:81], v[78:79], 2.0, -v[56:57]
	v_fma_f64 v[82:83], v[82:83], 2.0, -v[58:59]
	;; [unrolled: 1-line block ×9, first 2 shown]
	ds_store_b128 v166, v[48:51] offset:288
	ds_store_b128 v166, v[56:59] offset:192
	;; [unrolled: 1-line block ×3, first 2 shown]
	ds_store_b128 v166, v[80:83]
	ds_store_b128 v165, v[170:173]
	ds_store_b128 v165, v[76:79] offset:96
	ds_store_b128 v165, v[60:63] offset:192
	;; [unrolled: 1-line block ×3, first 2 shown]
	ds_store_b128 v164, v[178:181]
	ds_store_b128 v164, v[174:177] offset:96
	ds_store_b128 v164, v[68:71] offset:192
	ds_store_b128 v164, v[64:67] offset:288
	global_wb scope:SCOPE_SE
	s_wait_dscnt 0x0
	s_barrier_signal -1
	s_barrier_wait -1
	global_inv scope:SCOPE_SE
	ds_load_b128 v[48:51], v159 offset:1536
	ds_load_b128 v[52:55], v159 offset:3072
	;; [unrolled: 1-line block ×9, first 2 shown]
	s_wait_dscnt 0x8
	v_mul_f64_e32 v[160:161], v[106:107], v[50:51]
	v_mul_f64_e32 v[106:107], v[106:107], v[48:49]
	s_wait_dscnt 0x7
	v_mul_f64_e32 v[164:165], v[102:103], v[54:55]
	v_mul_f64_e32 v[102:103], v[102:103], v[52:53]
	;; [unrolled: 3-line block ×9, first 2 shown]
	v_fma_f64 v[160:161], v[104:105], v[48:49], v[160:161]
	v_fma_f64 v[104:105], v[104:105], v[50:51], -v[106:107]
	v_fma_f64 v[106:107], v[100:101], v[52:53], v[164:165]
	v_fma_f64 v[100:101], v[100:101], v[54:55], -v[102:103]
	;; [unrolled: 2-line block ×9, first 2 shown]
	ds_load_b128 v[48:51], v159
	ds_load_b128 v[52:55], v159 offset:512
	ds_load_b128 v[56:59], v159 offset:1024
	global_wb scope:SCOPE_SE
	s_wait_dscnt 0x0
	s_barrier_signal -1
	s_barrier_wait -1
	global_inv scope:SCOPE_SE
	v_add_f64_e64 v[84:85], v[48:49], -v[106:107]
	v_add_f64_e64 v[86:87], v[50:51], -v[100:101]
	;; [unrolled: 1-line block ×12, first 2 shown]
	v_fma_f64 v[78:79], v[48:49], 2.0, -v[84:85]
	v_fma_f64 v[80:81], v[50:51], 2.0, -v[86:87]
	;; [unrolled: 1-line block ×4, first 2 shown]
	v_add_f64_e32 v[48:49], v[84:85], v[90:91]
	v_fma_f64 v[82:83], v[52:53], 2.0, -v[92:93]
	v_fma_f64 v[100:101], v[54:55], 2.0, -v[94:95]
	;; [unrolled: 1-line block ×8, first 2 shown]
	v_add_f64_e32 v[56:57], v[92:93], v[66:67]
	v_add_f64_e64 v[58:59], v[94:95], -v[64:65]
	v_add_f64_e32 v[64:65], v[96:97], v[68:69]
	v_add_f64_e64 v[66:67], v[98:99], -v[76:77]
	v_add_f64_e64 v[52:53], v[78:79], -v[50:51]
	v_add_f64_e64 v[54:55], v[80:81], -v[70:71]
	v_add_f64_e64 v[50:51], v[86:87], -v[88:89]
	v_add_f64_e64 v[60:61], v[82:83], -v[60:61]
	v_add_f64_e64 v[62:63], v[100:101], -v[62:63]
	v_add_f64_e64 v[68:69], v[102:103], -v[72:73]
	v_add_f64_e64 v[70:71], v[104:105], -v[74:75]
	v_fma_f64 v[72:73], v[84:85], 2.0, -v[48:49]
	v_fma_f64 v[88:89], v[96:97], 2.0, -v[64:65]
	;; [unrolled: 1-line block ×12, first 2 shown]
	ds_store_b128 v169, v[76:79]
	ds_store_b128 v163, v[72:75] offset:384
	ds_store_b128 v163, v[52:55] offset:768
	ds_store_b128 v163, v[48:51] offset:1152
	ds_store_b128 v168, v[84:87]
	ds_store_b128 v168, v[80:83] offset:384
	ds_store_b128 v168, v[60:63] offset:768
	ds_store_b128 v168, v[56:59] offset:1152
	;; [unrolled: 4-line block ×3, first 2 shown]
	global_wb scope:SCOPE_SE
	s_wait_dscnt 0x0
	s_barrier_signal -1
	s_barrier_wait -1
	global_inv scope:SCOPE_SE
	ds_load_b128 v[48:51], v159 offset:1536
	ds_load_b128 v[52:55], v159 offset:3072
	;; [unrolled: 1-line block ×9, first 2 shown]
	s_wait_dscnt 0x8
	v_mul_f64_e32 v[84:85], v[130:131], v[50:51]
	v_mul_f64_e32 v[86:87], v[130:131], v[48:49]
	s_wait_dscnt 0x7
	v_mul_f64_e32 v[88:89], v[126:127], v[54:55]
	v_mul_f64_e32 v[90:91], v[126:127], v[52:53]
	;; [unrolled: 3-line block ×9, first 2 shown]
	v_fma_f64 v[84:85], v[128:129], v[48:49], v[84:85]
	v_fma_f64 v[86:87], v[128:129], v[50:51], -v[86:87]
	v_fma_f64 v[88:89], v[124:125], v[52:53], v[88:89]
	v_fma_f64 v[90:91], v[124:125], v[54:55], -v[90:91]
	;; [unrolled: 2-line block ×9, first 2 shown]
	ds_load_b128 v[48:51], v159
	ds_load_b128 v[52:55], v159 offset:512
	ds_load_b128 v[56:59], v159 offset:1024
	v_mad_co_u64_u32 v[108:109], null, s6, v156, 0
	s_wait_dscnt 0x2
	v_add_f64_e64 v[88:89], v[48:49], -v[88:89]
	v_add_f64_e64 v[90:91], v[50:51], -v[90:91]
	v_add_f64_e64 v[92:93], v[84:85], -v[92:93]
	v_add_f64_e64 v[94:95], v[86:87], -v[94:95]
	s_wait_dscnt 0x1
	v_add_f64_e64 v[96:97], v[52:53], -v[64:65]
	v_add_f64_e64 v[98:99], v[54:55], -v[66:67]
	v_add_f64_e64 v[64:65], v[60:61], -v[68:69]
	v_add_f64_e64 v[66:67], v[62:63], -v[70:71]
	;; [unrolled: 5-line block ×3, first 2 shown]
	v_fma_f64 v[78:79], v[48:49], 2.0, -v[88:89]
	v_fma_f64 v[82:83], v[50:51], 2.0, -v[90:91]
	;; [unrolled: 1-line block ×4, first 2 shown]
	v_add_f64_e32 v[48:49], v[88:89], v[94:95]
	v_add_f64_e64 v[50:51], v[90:91], -v[92:93]
	v_fma_f64 v[84:85], v[52:53], 2.0, -v[96:97]
	v_fma_f64 v[86:87], v[54:55], 2.0, -v[98:99]
	;; [unrolled: 1-line block ×4, first 2 shown]
	v_add_f64_e32 v[52:53], v[96:97], v[66:67]
	v_fma_f64 v[104:105], v[56:57], 2.0, -v[100:101]
	v_fma_f64 v[106:107], v[58:59], 2.0, -v[102:103]
	;; [unrolled: 1-line block ×4, first 2 shown]
	v_add_f64_e64 v[66:67], v[102:103], -v[76:77]
	v_add_f64_e64 v[56:57], v[78:79], -v[70:71]
	;; [unrolled: 1-line block ×6, first 2 shown]
	v_add_f64_e32 v[64:65], v[100:101], v[68:69]
	v_fma_f64 v[76:77], v[96:97], 2.0, -v[52:53]
	v_mad_co_u64_u32 v[96:97], null, s4, v157, 0
	v_add_f64_e64 v[68:69], v[104:105], -v[72:73]
	v_add_f64_e64 v[70:71], v[106:107], -v[74:75]
	v_fma_f64 v[72:73], v[88:89], 2.0, -v[48:49]
	v_fma_f64 v[74:75], v[90:91], 2.0, -v[50:51]
	;; [unrolled: 1-line block ×9, first 2 shown]
	v_mov_b32_e32 v98, v109
	v_fma_f64 v[92:93], v[104:105], 2.0, -v[68:69]
	v_fma_f64 v[94:95], v[106:107], 2.0, -v[70:71]
	s_delay_alu instid0(VALU_DEP_3)
	v_mad_co_u64_u32 v[98:99], null, s7, v156, v[98:99]
	ds_store_b128 v159, v[56:59] offset:3072
	ds_store_b128 v159, v[72:75] offset:1536
	ds_store_b128 v159, v[80:83]
	ds_store_b128 v158, v[48:51] offset:4608
	ds_store_b128 v159, v[84:87] offset:512
	;; [unrolled: 1-line block ×9, first 2 shown]
	v_mad_co_u64_u32 v[99:100], null, s5, v157, v[97:98]
	v_mov_b32_e32 v109, v98
	global_wb scope:SCOPE_SE
	s_wait_dscnt 0x0
	s_barrier_signal -1
	s_barrier_wait -1
	global_inv scope:SCOPE_SE
	ds_load_b128 v[48:51], v159
	ds_load_b128 v[52:55], v159 offset:1024
	v_mov_b32_e32 v97, v99
	v_lshlrev_b64_e32 v[98:99], 4, v[108:109]
	ds_load_b128 v[56:59], v158 offset:2048
	ds_load_b128 v[60:63], v159 offset:3072
	;; [unrolled: 1-line block ×4, first 2 shown]
	s_mulk_i32 s5, 0xee00
	v_lshlrev_b64_e32 v[96:97], 4, v[96:97]
	s_wait_alu 0xfffe
	s_sub_co_i32 s5, s5, s4
	v_add_co_u32 v72, vcc_lo, s2, v98
	s_wait_alu 0xfffd
	v_add_co_ci_u32_e32 v80, vcc_lo, s3, v99, vcc_lo
	s_mov_b32 s2, 0x55555555
	s_delay_alu instid0(VALU_DEP_2)
	v_add_co_u32 v96, vcc_lo, v72, v96
	ds_load_b128 v[72:75], v159 offset:512
	ds_load_b128 v[76:79], v159 offset:1536
	s_wait_alu 0xfffd
	v_add_co_ci_u32_e32 v97, vcc_lo, v80, v97, vcc_lo
	ds_load_b128 v[80:83], v158 offset:2560
	ds_load_b128 v[84:87], v159 offset:3584
	ds_load_b128 v[88:91], v158 offset:4608
	ds_load_b128 v[92:95], v158 offset:5632
	s_wait_dscnt 0xb
	v_mul_f64_e32 v[98:99], v[10:11], v[50:51]
	v_mul_f64_e32 v[10:11], v[10:11], v[48:49]
	s_wait_dscnt 0xa
	v_mul_f64_e32 v[100:101], v[18:19], v[54:55]
	v_mul_f64_e32 v[18:19], v[18:19], v[52:53]
	;; [unrolled: 3-line block ×6, first 2 shown]
	v_add_co_u32 v122, vcc_lo, v96, s0
	s_wait_alu 0xfffd
	v_add_co_ci_u32_e32 v123, vcc_lo, s1, v97, vcc_lo
	s_wait_dscnt 0x5
	v_mul_f64_e32 v[110:111], v[14:15], v[74:75]
	v_mul_f64_e32 v[14:15], v[14:15], v[72:73]
	s_wait_dscnt 0x4
	v_mul_f64_e32 v[112:113], v[22:23], v[78:79]
	v_mul_f64_e32 v[22:23], v[22:23], v[76:77]
	;; [unrolled: 3-line block ×6, first 2 shown]
	v_add_co_u32 v124, vcc_lo, v122, s0
	s_wait_alu 0xfffd
	v_add_co_ci_u32_e32 v125, vcc_lo, s1, v123, vcc_lo
	s_mov_b32 s3, 0x3f655555
	s_delay_alu instid0(VALU_DEP_2) | instskip(SKIP_1) | instid1(VALU_DEP_2)
	v_add_co_u32 v126, vcc_lo, v124, s0
	s_wait_alu 0xfffd
	v_add_co_ci_u32_e32 v127, vcc_lo, s1, v125, vcc_lo
	v_fma_f64 v[48:49], v[8:9], v[48:49], v[98:99]
	v_fma_f64 v[8:9], v[8:9], v[50:51], -v[10:11]
	v_fma_f64 v[10:11], v[16:17], v[52:53], v[100:101]
	v_fma_f64 v[16:17], v[16:17], v[54:55], -v[18:19]
	;; [unrolled: 2-line block ×12, first 2 shown]
	v_add_co_u32 v74, vcc_lo, v126, s0
	s_wait_alu 0xfffd
	v_add_co_ci_u32_e32 v75, vcc_lo, s1, v127, vcc_lo
	s_delay_alu instid0(VALU_DEP_2) | instskip(SKIP_1) | instid1(VALU_DEP_2)
	v_add_co_u32 v76, vcc_lo, v74, s0
	s_wait_alu 0xfffd
	v_add_co_ci_u32_e32 v77, vcc_lo, s1, v75, vcc_lo
	s_wait_alu 0xfffe
	v_mul_f64_e32 v[0:1], s[2:3], v[48:49]
	v_mul_f64_e32 v[2:3], s[2:3], v[8:9]
	;; [unrolled: 1-line block ×10, first 2 shown]
	v_mad_co_u64_u32 v[78:79], null, 0xffffee00, s4, v[76:77]
	v_mul_f64_e32 v[20:21], s[2:3], v[52:53]
	v_mul_f64_e32 v[22:23], s[2:3], v[54:55]
	;; [unrolled: 1-line block ×14, first 2 shown]
	v_add_nc_u32_e32 v79, s5, v79
	v_add_co_u32 v48, vcc_lo, v78, s0
	s_wait_alu 0xfffd
	s_delay_alu instid0(VALU_DEP_2) | instskip(NEXT) | instid1(VALU_DEP_2)
	v_add_co_ci_u32_e32 v49, vcc_lo, s1, v79, vcc_lo
	v_add_co_u32 v50, vcc_lo, v48, s0
	s_wait_alu 0xfffd
	s_delay_alu instid0(VALU_DEP_2) | instskip(NEXT) | instid1(VALU_DEP_2)
	v_add_co_ci_u32_e32 v51, vcc_lo, s1, v49, vcc_lo
	;; [unrolled: 4-line block ×4, first 2 shown]
	v_add_co_u32 v56, vcc_lo, v54, s0
	s_wait_alu 0xfffd
	s_delay_alu instid0(VALU_DEP_2)
	v_add_co_ci_u32_e32 v57, vcc_lo, s1, v55, vcc_lo
	s_clause 0x4
	global_store_b128 v[96:97], v[0:3], off
	global_store_b128 v[122:123], v[4:7], off
	;; [unrolled: 1-line block ×12, first 2 shown]
.LBB0_2:
	s_nop 0
	s_sendmsg sendmsg(MSG_DEALLOC_VGPRS)
	s_endpgm
	.section	.rodata,"a",@progbits
	.p2align	6, 0x0
	.amdhsa_kernel bluestein_single_back_len384_dim1_dp_op_CI_CI
		.amdhsa_group_segment_fixed_size 24576
		.amdhsa_private_segment_fixed_size 0
		.amdhsa_kernarg_size 104
		.amdhsa_user_sgpr_count 2
		.amdhsa_user_sgpr_dispatch_ptr 0
		.amdhsa_user_sgpr_queue_ptr 0
		.amdhsa_user_sgpr_kernarg_segment_ptr 1
		.amdhsa_user_sgpr_dispatch_id 0
		.amdhsa_user_sgpr_private_segment_size 0
		.amdhsa_wavefront_size32 1
		.amdhsa_uses_dynamic_stack 0
		.amdhsa_enable_private_segment 0
		.amdhsa_system_sgpr_workgroup_id_x 1
		.amdhsa_system_sgpr_workgroup_id_y 0
		.amdhsa_system_sgpr_workgroup_id_z 0
		.amdhsa_system_sgpr_workgroup_info 0
		.amdhsa_system_vgpr_workitem_id 0
		.amdhsa_next_free_vgpr 244
		.amdhsa_next_free_sgpr 20
		.amdhsa_reserve_vcc 1
		.amdhsa_float_round_mode_32 0
		.amdhsa_float_round_mode_16_64 0
		.amdhsa_float_denorm_mode_32 3
		.amdhsa_float_denorm_mode_16_64 3
		.amdhsa_fp16_overflow 0
		.amdhsa_workgroup_processor_mode 1
		.amdhsa_memory_ordered 1
		.amdhsa_forward_progress 0
		.amdhsa_round_robin_scheduling 0
		.amdhsa_exception_fp_ieee_invalid_op 0
		.amdhsa_exception_fp_denorm_src 0
		.amdhsa_exception_fp_ieee_div_zero 0
		.amdhsa_exception_fp_ieee_overflow 0
		.amdhsa_exception_fp_ieee_underflow 0
		.amdhsa_exception_fp_ieee_inexact 0
		.amdhsa_exception_int_div_zero 0
	.end_amdhsa_kernel
	.text
.Lfunc_end0:
	.size	bluestein_single_back_len384_dim1_dp_op_CI_CI, .Lfunc_end0-bluestein_single_back_len384_dim1_dp_op_CI_CI
                                        ; -- End function
	.section	.AMDGPU.csdata,"",@progbits
; Kernel info:
; codeLenInByte = 10912
; NumSgprs: 22
; NumVgprs: 244
; ScratchSize: 0
; MemoryBound: 0
; FloatMode: 240
; IeeeMode: 1
; LDSByteSize: 24576 bytes/workgroup (compile time only)
; SGPRBlocks: 2
; VGPRBlocks: 30
; NumSGPRsForWavesPerEU: 22
; NumVGPRsForWavesPerEU: 244
; Occupancy: 5
; WaveLimiterHint : 1
; COMPUTE_PGM_RSRC2:SCRATCH_EN: 0
; COMPUTE_PGM_RSRC2:USER_SGPR: 2
; COMPUTE_PGM_RSRC2:TRAP_HANDLER: 0
; COMPUTE_PGM_RSRC2:TGID_X_EN: 1
; COMPUTE_PGM_RSRC2:TGID_Y_EN: 0
; COMPUTE_PGM_RSRC2:TGID_Z_EN: 0
; COMPUTE_PGM_RSRC2:TIDIG_COMP_CNT: 0
	.text
	.p2alignl 7, 3214868480
	.fill 96, 4, 3214868480
	.type	__hip_cuid_3efdd0f77a493a7e,@object ; @__hip_cuid_3efdd0f77a493a7e
	.section	.bss,"aw",@nobits
	.globl	__hip_cuid_3efdd0f77a493a7e
__hip_cuid_3efdd0f77a493a7e:
	.byte	0                               ; 0x0
	.size	__hip_cuid_3efdd0f77a493a7e, 1

	.ident	"AMD clang version 19.0.0git (https://github.com/RadeonOpenCompute/llvm-project roc-6.4.0 25133 c7fe45cf4b819c5991fe208aaa96edf142730f1d)"
	.section	".note.GNU-stack","",@progbits
	.addrsig
	.addrsig_sym __hip_cuid_3efdd0f77a493a7e
	.amdgpu_metadata
---
amdhsa.kernels:
  - .args:
      - .actual_access:  read_only
        .address_space:  global
        .offset:         0
        .size:           8
        .value_kind:     global_buffer
      - .actual_access:  read_only
        .address_space:  global
        .offset:         8
        .size:           8
        .value_kind:     global_buffer
      - .actual_access:  read_only
        .address_space:  global
        .offset:         16
        .size:           8
        .value_kind:     global_buffer
      - .actual_access:  read_only
        .address_space:  global
        .offset:         24
        .size:           8
        .value_kind:     global_buffer
      - .actual_access:  read_only
        .address_space:  global
        .offset:         32
        .size:           8
        .value_kind:     global_buffer
      - .offset:         40
        .size:           8
        .value_kind:     by_value
      - .address_space:  global
        .offset:         48
        .size:           8
        .value_kind:     global_buffer
      - .address_space:  global
        .offset:         56
        .size:           8
        .value_kind:     global_buffer
      - .address_space:  global
        .offset:         64
        .size:           8
        .value_kind:     global_buffer
      - .address_space:  global
        .offset:         72
        .size:           8
        .value_kind:     global_buffer
      - .offset:         80
        .size:           4
        .value_kind:     by_value
      - .address_space:  global
        .offset:         88
        .size:           8
        .value_kind:     global_buffer
      - .address_space:  global
        .offset:         96
        .size:           8
        .value_kind:     global_buffer
    .group_segment_fixed_size: 24576
    .kernarg_segment_align: 8
    .kernarg_segment_size: 104
    .language:       OpenCL C
    .language_version:
      - 2
      - 0
    .max_flat_workgroup_size: 128
    .name:           bluestein_single_back_len384_dim1_dp_op_CI_CI
    .private_segment_fixed_size: 0
    .sgpr_count:     22
    .sgpr_spill_count: 0
    .symbol:         bluestein_single_back_len384_dim1_dp_op_CI_CI.kd
    .uniform_work_group_size: 1
    .uses_dynamic_stack: false
    .vgpr_count:     244
    .vgpr_spill_count: 0
    .wavefront_size: 32
    .workgroup_processor_mode: 1
amdhsa.target:   amdgcn-amd-amdhsa--gfx1201
amdhsa.version:
  - 1
  - 2
...

	.end_amdgpu_metadata
